;; amdgpu-corpus repo=ROCm/rocFFT kind=compiled arch=gfx906 opt=O3
	.text
	.amdgcn_target "amdgcn-amd-amdhsa--gfx906"
	.amdhsa_code_object_version 6
	.protected	fft_rtc_fwd_len700_factors_10_7_10_wgs_100_tpt_100_sp_ip_CI_unitstride_sbrr_C2R_dirReg ; -- Begin function fft_rtc_fwd_len700_factors_10_7_10_wgs_100_tpt_100_sp_ip_CI_unitstride_sbrr_C2R_dirReg
	.globl	fft_rtc_fwd_len700_factors_10_7_10_wgs_100_tpt_100_sp_ip_CI_unitstride_sbrr_C2R_dirReg
	.p2align	8
	.type	fft_rtc_fwd_len700_factors_10_7_10_wgs_100_tpt_100_sp_ip_CI_unitstride_sbrr_C2R_dirReg,@function
fft_rtc_fwd_len700_factors_10_7_10_wgs_100_tpt_100_sp_ip_CI_unitstride_sbrr_C2R_dirReg: ; @fft_rtc_fwd_len700_factors_10_7_10_wgs_100_tpt_100_sp_ip_CI_unitstride_sbrr_C2R_dirReg
; %bb.0:
	s_load_dwordx2 s[2:3], s[4:5], 0x50
	s_load_dwordx4 s[8:11], s[4:5], 0x0
	s_load_dwordx2 s[12:13], s[4:5], 0x18
	v_mul_u32_u24_e32 v1, 0x290, v0
	v_add_u32_sdwa v5, s6, v1 dst_sel:DWORD dst_unused:UNUSED_PAD src0_sel:DWORD src1_sel:WORD_1
	v_mov_b32_e32 v3, 0
	s_waitcnt lgkmcnt(0)
	v_cmp_lt_u64_e64 s[0:1], s[10:11], 2
	v_mov_b32_e32 v1, 0
	v_mov_b32_e32 v6, v3
	s_and_b64 vcc, exec, s[0:1]
	v_mov_b32_e32 v2, 0
	s_cbranch_vccnz .LBB0_8
; %bb.1:
	s_load_dwordx2 s[0:1], s[4:5], 0x10
	s_add_u32 s6, s12, 8
	s_addc_u32 s7, s13, 0
	v_mov_b32_e32 v1, 0
	v_mov_b32_e32 v2, 0
	s_waitcnt lgkmcnt(0)
	s_add_u32 s14, s0, 8
	s_addc_u32 s15, s1, 0
	s_mov_b64 s[16:17], 1
.LBB0_2:                                ; =>This Inner Loop Header: Depth=1
	s_load_dwordx2 s[18:19], s[14:15], 0x0
                                        ; implicit-def: $vgpr7_vgpr8
	s_waitcnt lgkmcnt(0)
	v_or_b32_e32 v4, s19, v6
	v_cmp_ne_u64_e32 vcc, 0, v[3:4]
	s_and_saveexec_b64 s[0:1], vcc
	s_xor_b64 s[20:21], exec, s[0:1]
	s_cbranch_execz .LBB0_4
; %bb.3:                                ;   in Loop: Header=BB0_2 Depth=1
	v_cvt_f32_u32_e32 v4, s18
	v_cvt_f32_u32_e32 v7, s19
	s_sub_u32 s0, 0, s18
	s_subb_u32 s1, 0, s19
	v_mac_f32_e32 v4, 0x4f800000, v7
	v_rcp_f32_e32 v4, v4
	v_mul_f32_e32 v4, 0x5f7ffffc, v4
	v_mul_f32_e32 v7, 0x2f800000, v4
	v_trunc_f32_e32 v7, v7
	v_mac_f32_e32 v4, 0xcf800000, v7
	v_cvt_u32_f32_e32 v7, v7
	v_cvt_u32_f32_e32 v4, v4
	v_mul_lo_u32 v8, s0, v7
	v_mul_hi_u32 v9, s0, v4
	v_mul_lo_u32 v11, s1, v4
	v_mul_lo_u32 v10, s0, v4
	v_add_u32_e32 v8, v9, v8
	v_add_u32_e32 v8, v8, v11
	v_mul_hi_u32 v9, v4, v10
	v_mul_lo_u32 v11, v4, v8
	v_mul_hi_u32 v13, v4, v8
	v_mul_hi_u32 v12, v7, v10
	v_mul_lo_u32 v10, v7, v10
	v_mul_hi_u32 v14, v7, v8
	v_add_co_u32_e32 v9, vcc, v9, v11
	v_addc_co_u32_e32 v11, vcc, 0, v13, vcc
	v_mul_lo_u32 v8, v7, v8
	v_add_co_u32_e32 v9, vcc, v9, v10
	v_addc_co_u32_e32 v9, vcc, v11, v12, vcc
	v_addc_co_u32_e32 v10, vcc, 0, v14, vcc
	v_add_co_u32_e32 v8, vcc, v9, v8
	v_addc_co_u32_e32 v9, vcc, 0, v10, vcc
	v_add_co_u32_e32 v4, vcc, v4, v8
	v_addc_co_u32_e32 v7, vcc, v7, v9, vcc
	v_mul_lo_u32 v8, s0, v7
	v_mul_hi_u32 v9, s0, v4
	v_mul_lo_u32 v10, s1, v4
	v_mul_lo_u32 v11, s0, v4
	v_add_u32_e32 v8, v9, v8
	v_add_u32_e32 v8, v8, v10
	v_mul_lo_u32 v12, v4, v8
	v_mul_hi_u32 v13, v4, v11
	v_mul_hi_u32 v14, v4, v8
	;; [unrolled: 1-line block ×3, first 2 shown]
	v_mul_lo_u32 v11, v7, v11
	v_mul_hi_u32 v9, v7, v8
	v_add_co_u32_e32 v12, vcc, v13, v12
	v_addc_co_u32_e32 v13, vcc, 0, v14, vcc
	v_mul_lo_u32 v8, v7, v8
	v_add_co_u32_e32 v11, vcc, v12, v11
	v_addc_co_u32_e32 v10, vcc, v13, v10, vcc
	v_addc_co_u32_e32 v9, vcc, 0, v9, vcc
	v_add_co_u32_e32 v8, vcc, v10, v8
	v_addc_co_u32_e32 v9, vcc, 0, v9, vcc
	v_add_co_u32_e32 v4, vcc, v4, v8
	v_addc_co_u32_e32 v9, vcc, v7, v9, vcc
	v_mad_u64_u32 v[7:8], s[0:1], v5, v9, 0
	v_mul_hi_u32 v10, v5, v4
	v_add_co_u32_e32 v11, vcc, v10, v7
	v_addc_co_u32_e32 v12, vcc, 0, v8, vcc
	v_mad_u64_u32 v[7:8], s[0:1], v6, v4, 0
	v_mad_u64_u32 v[9:10], s[0:1], v6, v9, 0
	v_add_co_u32_e32 v4, vcc, v11, v7
	v_addc_co_u32_e32 v4, vcc, v12, v8, vcc
	v_addc_co_u32_e32 v7, vcc, 0, v10, vcc
	v_add_co_u32_e32 v4, vcc, v4, v9
	v_addc_co_u32_e32 v9, vcc, 0, v7, vcc
	v_mul_lo_u32 v10, s19, v4
	v_mul_lo_u32 v11, s18, v9
	v_mad_u64_u32 v[7:8], s[0:1], s18, v4, 0
	v_add3_u32 v8, v8, v11, v10
	v_sub_u32_e32 v10, v6, v8
	v_mov_b32_e32 v11, s19
	v_sub_co_u32_e32 v7, vcc, v5, v7
	v_subb_co_u32_e64 v10, s[0:1], v10, v11, vcc
	v_subrev_co_u32_e64 v11, s[0:1], s18, v7
	v_subbrev_co_u32_e64 v10, s[0:1], 0, v10, s[0:1]
	v_cmp_le_u32_e64 s[0:1], s19, v10
	v_cndmask_b32_e64 v12, 0, -1, s[0:1]
	v_cmp_le_u32_e64 s[0:1], s18, v11
	v_cndmask_b32_e64 v11, 0, -1, s[0:1]
	v_cmp_eq_u32_e64 s[0:1], s19, v10
	v_cndmask_b32_e64 v10, v12, v11, s[0:1]
	v_add_co_u32_e64 v11, s[0:1], 2, v4
	v_addc_co_u32_e64 v12, s[0:1], 0, v9, s[0:1]
	v_add_co_u32_e64 v13, s[0:1], 1, v4
	v_addc_co_u32_e64 v14, s[0:1], 0, v9, s[0:1]
	v_subb_co_u32_e32 v8, vcc, v6, v8, vcc
	v_cmp_ne_u32_e64 s[0:1], 0, v10
	v_cmp_le_u32_e32 vcc, s19, v8
	v_cndmask_b32_e64 v10, v14, v12, s[0:1]
	v_cndmask_b32_e64 v12, 0, -1, vcc
	v_cmp_le_u32_e32 vcc, s18, v7
	v_cndmask_b32_e64 v7, 0, -1, vcc
	v_cmp_eq_u32_e32 vcc, s19, v8
	v_cndmask_b32_e32 v7, v12, v7, vcc
	v_cmp_ne_u32_e32 vcc, 0, v7
	v_cndmask_b32_e64 v7, v13, v11, s[0:1]
	v_cndmask_b32_e32 v8, v9, v10, vcc
	v_cndmask_b32_e32 v7, v4, v7, vcc
.LBB0_4:                                ;   in Loop: Header=BB0_2 Depth=1
	s_andn2_saveexec_b64 s[0:1], s[20:21]
	s_cbranch_execz .LBB0_6
; %bb.5:                                ;   in Loop: Header=BB0_2 Depth=1
	v_cvt_f32_u32_e32 v4, s18
	s_sub_i32 s20, 0, s18
	v_rcp_iflag_f32_e32 v4, v4
	v_mul_f32_e32 v4, 0x4f7ffffe, v4
	v_cvt_u32_f32_e32 v4, v4
	v_mul_lo_u32 v7, s20, v4
	v_mul_hi_u32 v7, v4, v7
	v_add_u32_e32 v4, v4, v7
	v_mul_hi_u32 v4, v5, v4
	v_mul_lo_u32 v7, v4, s18
	v_add_u32_e32 v8, 1, v4
	v_sub_u32_e32 v7, v5, v7
	v_subrev_u32_e32 v9, s18, v7
	v_cmp_le_u32_e32 vcc, s18, v7
	v_cndmask_b32_e32 v7, v7, v9, vcc
	v_cndmask_b32_e32 v4, v4, v8, vcc
	v_add_u32_e32 v8, 1, v4
	v_cmp_le_u32_e32 vcc, s18, v7
	v_cndmask_b32_e32 v7, v4, v8, vcc
	v_mov_b32_e32 v8, v3
.LBB0_6:                                ;   in Loop: Header=BB0_2 Depth=1
	s_or_b64 exec, exec, s[0:1]
	v_mul_lo_u32 v4, v8, s18
	v_mul_lo_u32 v11, v7, s19
	v_mad_u64_u32 v[9:10], s[0:1], v7, s18, 0
	s_load_dwordx2 s[0:1], s[6:7], 0x0
	s_add_u32 s16, s16, 1
	v_add3_u32 v4, v10, v11, v4
	v_sub_co_u32_e32 v5, vcc, v5, v9
	v_subb_co_u32_e32 v4, vcc, v6, v4, vcc
	s_waitcnt lgkmcnt(0)
	v_mul_lo_u32 v4, s0, v4
	v_mul_lo_u32 v6, s1, v5
	v_mad_u64_u32 v[1:2], s[0:1], s0, v5, v[1:2]
	s_addc_u32 s17, s17, 0
	s_add_u32 s6, s6, 8
	v_add3_u32 v2, v6, v2, v4
	v_mov_b32_e32 v4, s10
	v_mov_b32_e32 v5, s11
	s_addc_u32 s7, s7, 0
	v_cmp_ge_u64_e32 vcc, s[16:17], v[4:5]
	s_add_u32 s14, s14, 8
	s_addc_u32 s15, s15, 0
	s_cbranch_vccnz .LBB0_9
; %bb.7:                                ;   in Loop: Header=BB0_2 Depth=1
	v_mov_b32_e32 v5, v7
	v_mov_b32_e32 v6, v8
	s_branch .LBB0_2
.LBB0_8:
	v_mov_b32_e32 v8, v6
	v_mov_b32_e32 v7, v5
.LBB0_9:
	s_lshl_b64 s[0:1], s[10:11], 3
	s_add_u32 s0, s12, s0
	s_addc_u32 s1, s13, s1
	s_load_dwordx2 s[6:7], s[0:1], 0x0
	s_load_dwordx2 s[10:11], s[4:5], 0x20
	s_waitcnt lgkmcnt(0)
	v_mad_u64_u32 v[1:2], s[0:1], s6, v7, v[1:2]
	v_mul_lo_u32 v3, s6, v8
	v_mul_lo_u32 v4, s7, v7
	s_mov_b32 s0, 0x28f5c29
	v_mul_hi_u32 v5, v0, s0
	v_cmp_gt_u64_e64 s[0:1], s[10:11], v[7:8]
	v_add3_u32 v2, v4, v2, v3
	v_lshlrev_b64 v[30:31], 3, v[1:2]
	v_mul_u32_u24_e32 v3, 0x64, v5
	v_sub_u32_e32 v28, v0, v3
	s_and_saveexec_b64 s[4:5], s[0:1]
	s_cbranch_execz .LBB0_13
; %bb.10:
	v_mov_b32_e32 v29, 0
	v_mov_b32_e32 v0, s3
	v_add_co_u32_e32 v1, vcc, s2, v30
	v_lshlrev_b64 v[2:3], 3, v[28:29]
	v_addc_co_u32_e32 v0, vcc, v0, v31, vcc
	v_add_co_u32_e32 v2, vcc, v1, v2
	v_addc_co_u32_e32 v3, vcc, v0, v3, vcc
	v_add_co_u32_e32 v12, vcc, 0x1000, v2
	global_load_dwordx2 v[4:5], v[2:3], off
	global_load_dwordx2 v[6:7], v[2:3], off offset:800
	global_load_dwordx2 v[8:9], v[2:3], off offset:1600
	global_load_dwordx2 v[10:11], v[2:3], off offset:2400
	v_addc_co_u32_e32 v13, vcc, 0, v3, vcc
	global_load_dwordx2 v[14:15], v[2:3], off offset:3200
	global_load_dwordx2 v[16:17], v[2:3], off offset:4000
	;; [unrolled: 1-line block ×3, first 2 shown]
	s_movk_i32 s6, 0x63
	v_lshl_add_u32 v2, v28, 3, 0
	v_cmp_eq_u32_e32 vcc, s6, v28
	v_add_u32_e32 v3, 0x400, v2
	v_add_u32_e32 v12, 0x800, v2
	s_waitcnt vmcnt(5)
	ds_write2_b64 v2, v[4:5], v[6:7] offset1:100
	s_waitcnt vmcnt(3)
	ds_write2_b64 v3, v[8:9], v[10:11] offset0:72 offset1:172
	s_waitcnt vmcnt(1)
	ds_write2_b64 v12, v[14:15], v[16:17] offset0:144 offset1:244
	s_waitcnt vmcnt(0)
	ds_write_b64 v2, v[18:19] offset:4800
	s_and_saveexec_b64 s[6:7], vcc
	s_cbranch_execz .LBB0_12
; %bb.11:
	v_add_co_u32_e32 v1, vcc, 0x1000, v1
	v_addc_co_u32_e32 v2, vcc, 0, v0, vcc
	global_load_dwordx2 v[0:1], v[1:2], off offset:1504
	v_mov_b32_e32 v28, 0x63
	s_waitcnt vmcnt(0)
	ds_write_b64 v29, v[0:1] offset:5600
.LBB0_12:
	s_or_b64 exec, exec, s[6:7]
.LBB0_13:
	s_or_b64 exec, exec, s[4:5]
	v_lshlrev_b32_e32 v0, 3, v28
	v_add_u32_e32 v32, 0, v0
	s_waitcnt lgkmcnt(0)
	s_barrier
	v_sub_u32_e32 v4, 0, v0
	ds_read_b32 v5, v32
	ds_read_b32 v6, v4 offset:5600
	s_add_u32 s6, s8, 0x1590
	s_addc_u32 s7, s9, 0
	v_cmp_ne_u32_e32 vcc, 0, v28
                                        ; implicit-def: $vgpr2_vgpr3
	s_waitcnt lgkmcnt(0)
	v_add_f32_e32 v0, v6, v5
	v_sub_f32_e32 v1, v5, v6
	s_and_saveexec_b64 s[4:5], vcc
	s_xor_b64 s[4:5], exec, s[4:5]
	s_cbranch_execz .LBB0_15
; %bb.14:
	v_mov_b32_e32 v29, 0
	v_lshlrev_b64 v[0:1], 3, v[28:29]
	v_mov_b32_e32 v2, s7
	v_add_co_u32_e32 v0, vcc, s6, v0
	v_addc_co_u32_e32 v1, vcc, v2, v1, vcc
	global_load_dwordx2 v[2:3], v[0:1], off
	ds_read_b32 v0, v4 offset:5604
	ds_read_b32 v1, v32 offset:4
	v_add_f32_e32 v7, v6, v5
	v_sub_f32_e32 v8, v5, v6
	s_waitcnt lgkmcnt(0)
	v_add_f32_e32 v9, v0, v1
	v_sub_f32_e32 v0, v1, v0
	s_waitcnt vmcnt(0)
	v_fma_f32 v10, v8, v3, v7
	v_fma_f32 v1, v9, v3, v0
	v_fma_f32 v5, -v8, v3, v7
	v_fma_f32 v6, v9, v3, -v0
	v_fma_f32 v0, -v2, v9, v10
	v_fmac_f32_e32 v1, v8, v2
	v_fmac_f32_e32 v5, v2, v9
	v_fmac_f32_e32 v6, v8, v2
	v_mov_b32_e32 v2, v28
	ds_write_b64 v4, v[5:6] offset:5600
	v_mov_b32_e32 v3, v29
.LBB0_15:
	s_andn2_saveexec_b64 s[4:5], s[4:5]
	s_cbranch_execz .LBB0_17
; %bb.16:
	v_mov_b32_e32 v7, 0
	ds_read_b64 v[2:3], v7 offset:2800
	s_waitcnt lgkmcnt(0)
	v_add_f32_e32 v5, v2, v2
	v_mul_f32_e32 v6, -2.0, v3
	v_mov_b32_e32 v2, 0
	v_mov_b32_e32 v3, 0
	ds_write_b64 v7, v[5:6] offset:2800
.LBB0_17:
	s_or_b64 exec, exec, s[4:5]
	v_lshlrev_b64 v[2:3], 3, v[2:3]
	v_mov_b32_e32 v5, s7
	v_add_co_u32_e32 v2, vcc, s6, v2
	v_addc_co_u32_e32 v3, vcc, v5, v3, vcc
	global_load_dwordx2 v[5:6], v[2:3], off offset:800
	global_load_dwordx2 v[7:8], v[2:3], off offset:1600
	ds_write_b64 v32, v[0:1]
	ds_read_b64 v[0:1], v32 offset:800
	ds_read_b64 v[9:10], v4 offset:4800
	v_cmp_gt_u32_e32 vcc, 50, v28
	s_waitcnt lgkmcnt(0)
	v_add_f32_e32 v11, v0, v9
	v_add_f32_e32 v12, v10, v1
	v_sub_f32_e32 v13, v0, v9
	v_sub_f32_e32 v0, v1, v10
	s_waitcnt vmcnt(1)
	v_fma_f32 v14, v13, v6, v11
	v_fma_f32 v1, v12, v6, v0
	v_fma_f32 v9, -v13, v6, v11
	v_fma_f32 v10, v12, v6, -v0
	v_fma_f32 v0, -v5, v12, v14
	v_fmac_f32_e32 v1, v13, v5
	v_fmac_f32_e32 v9, v5, v12
	;; [unrolled: 1-line block ×3, first 2 shown]
	ds_write_b64 v32, v[0:1] offset:800
	ds_write_b64 v4, v[9:10] offset:4800
	ds_read_b64 v[0:1], v32 offset:1600
	ds_read_b64 v[5:6], v4 offset:4000
	s_waitcnt lgkmcnt(0)
	v_add_f32_e32 v9, v0, v5
	v_add_f32_e32 v10, v6, v1
	v_sub_f32_e32 v11, v0, v5
	v_sub_f32_e32 v0, v1, v6
	s_waitcnt vmcnt(0)
	v_fma_f32 v12, v11, v8, v9
	v_fma_f32 v1, v10, v8, v0
	v_fma_f32 v5, -v11, v8, v9
	v_fma_f32 v6, v10, v8, -v0
	v_fma_f32 v0, -v7, v10, v12
	v_fmac_f32_e32 v1, v11, v7
	v_fmac_f32_e32 v5, v7, v10
	;; [unrolled: 1-line block ×3, first 2 shown]
	ds_write_b64 v32, v[0:1] offset:1600
	ds_write_b64 v4, v[5:6] offset:4000
	s_and_saveexec_b64 s[4:5], vcc
	s_cbranch_execz .LBB0_19
; %bb.18:
	global_load_dwordx2 v[0:1], v[2:3], off offset:2400
	ds_read_b64 v[2:3], v32 offset:2400
	ds_read_b64 v[5:6], v4 offset:3200
	s_waitcnt lgkmcnt(0)
	v_add_f32_e32 v7, v2, v5
	v_add_f32_e32 v8, v6, v3
	v_sub_f32_e32 v9, v2, v5
	v_sub_f32_e32 v3, v3, v6
	s_waitcnt vmcnt(0)
	v_fma_f32 v10, v9, v1, v7
	v_fma_f32 v2, v8, v1, v3
	v_fma_f32 v5, -v9, v1, v7
	v_fma_f32 v6, v8, v1, -v3
	v_fma_f32 v1, -v0, v8, v10
	v_fmac_f32_e32 v2, v9, v0
	v_fmac_f32_e32 v5, v0, v8
	;; [unrolled: 1-line block ×3, first 2 shown]
	ds_write_b64 v32, v[1:2] offset:2400
	ds_write_b64 v4, v[5:6] offset:3200
.LBB0_19:
	s_or_b64 exec, exec, s[4:5]
	v_add_u32_e32 v0, 0x800, v32
	s_waitcnt lgkmcnt(0)
	s_barrier
	s_barrier
	ds_read2_b64 v[8:11], v32 offset0:140 offset1:210
	ds_read2_b64 v[12:15], v0 offset0:24 offset1:94
	;; [unrolled: 1-line block ×3, first 2 shown]
	v_add_u32_e32 v1, 0x1000, v32
	ds_read2_b64 v[20:23], v1 offset0:48 offset1:118
	ds_read2_b64 v[24:27], v32 offset1:70
	s_mov_b32 s4, 0x3f737871
	s_waitcnt lgkmcnt(3)
	v_sub_f32_e32 v1, v8, v12
	s_waitcnt lgkmcnt(2)
	v_sub_f32_e32 v33, v13, v17
	;; [unrolled: 2-line block ×3, first 2 shown]
	v_add_f32_e32 v34, v1, v2
	v_sub_f32_e32 v1, v12, v8
	v_sub_f32_e32 v2, v16, v20
	v_add_f32_e32 v2, v1, v2
	v_add_f32_e32 v1, v8, v20
	s_waitcnt lgkmcnt(0)
	v_fma_f32 v29, -0.5, v1, v24
	v_mov_b32_e32 v1, v29
	v_fmac_f32_e32 v1, 0xbf737871, v33
	v_sub_f32_e32 v37, v9, v21
	v_fmac_f32_e32 v29, 0x3f737871, v33
	v_fmac_f32_e32 v1, 0x3f167918, v37
	v_fmac_f32_e32 v29, 0xbf167918, v37
	v_fmac_f32_e32 v1, 0x3e9e377a, v2
	v_fmac_f32_e32 v29, 0x3e9e377a, v2
	v_sub_f32_e32 v2, v9, v13
	v_sub_f32_e32 v3, v21, v17
	v_add_f32_e32 v38, v2, v3
	v_sub_f32_e32 v2, v13, v9
	v_sub_f32_e32 v3, v17, v21
	v_add_f32_e32 v2, v2, v3
	v_add_f32_e32 v3, v9, v21
	v_fma_f32 v35, -0.5, v3, v25
	v_sub_f32_e32 v39, v12, v16
	v_mov_b32_e32 v36, v35
	v_fmac_f32_e32 v36, 0x3f737871, v39
	v_sub_f32_e32 v40, v8, v20
	v_fmac_f32_e32 v35, 0xbf737871, v39
	v_fmac_f32_e32 v36, 0xbf167918, v40
	v_fmac_f32_e32 v35, 0x3f167918, v40
	v_fmac_f32_e32 v36, 0x3e9e377a, v2
	v_fmac_f32_e32 v35, 0x3e9e377a, v2
	v_sub_f32_e32 v2, v10, v14
	v_sub_f32_e32 v3, v22, v18
	v_add_f32_e32 v41, v2, v3
	v_sub_f32_e32 v2, v14, v10
	v_sub_f32_e32 v3, v18, v22
	v_add_f32_e32 v2, v2, v3
	v_add_f32_e32 v3, v10, v22
	v_fma_f32 v3, -0.5, v3, v26
	v_sub_f32_e32 v42, v15, v19
	v_mov_b32_e32 v4, v3
	v_fmac_f32_e32 v4, 0xbf737871, v42
	v_sub_f32_e32 v44, v11, v23
	v_fmac_f32_e32 v3, 0x3f737871, v42
	v_fmac_f32_e32 v4, 0x3f167918, v44
	v_fmac_f32_e32 v3, 0xbf167918, v44
	v_fmac_f32_e32 v4, 0x3e9e377a, v2
	v_fmac_f32_e32 v3, 0x3e9e377a, v2
	v_sub_f32_e32 v2, v11, v15
	v_sub_f32_e32 v5, v23, v19
	v_add_f32_e32 v46, v2, v5
	v_sub_f32_e32 v2, v15, v11
	v_sub_f32_e32 v5, v19, v23
	v_add_f32_e32 v2, v2, v5
	v_add_f32_e32 v5, v11, v23
	v_fma_f32 v5, -0.5, v5, v27
	v_sub_f32_e32 v49, v14, v18
	v_mov_b32_e32 v6, v5
	v_fmac_f32_e32 v6, 0x3f737871, v49
	v_sub_f32_e32 v51, v10, v22
	v_fmac_f32_e32 v5, 0xbf737871, v49
	v_fmac_f32_e32 v6, 0xbf167918, v51
	;; [unrolled: 1-line block ×5, first 2 shown]
	v_mul_f32_e32 v2, 0x3e9e377a, v3
	s_mov_b32 s5, 0xbf737871
	v_fma_f32 v47, v5, s4, -v2
	v_mul_f32_e32 v2, 0x3e9e377a, v5
	v_fma_f32 v48, v3, s5, -v2
	v_add_f32_e32 v2, v14, v18
	v_fma_f32 v55, -0.5, v2, v26
	v_add_f32_e32 v3, v15, v19
	v_mov_b32_e32 v2, v55
	v_fma_f32 v57, -0.5, v3, v27
	v_fmac_f32_e32 v2, 0xbf737871, v44
	v_mov_b32_e32 v3, v57
	v_fmac_f32_e32 v2, 0xbf167918, v42
	v_fmac_f32_e32 v3, 0x3f737871, v51
	v_mul_f32_e32 v43, 0x3f737871, v6
	v_fmac_f32_e32 v2, 0x3e9e377a, v41
	v_fmac_f32_e32 v3, 0x3f167918, v49
	;; [unrolled: 1-line block ×3, first 2 shown]
	v_mul_f32_e32 v45, 0xbf737871, v4
	s_mov_b32 s4, 0x3f167918
	v_fmac_f32_e32 v3, 0x3e9e377a, v46
	v_mul_f32_e32 v4, 0x3f4f1bbd, v2
	s_mov_b32 s5, 0xbf167918
	v_fma_f32 v50, v3, s4, -v4
	v_mul_f32_e32 v3, 0x3f4f1bbd, v3
	v_fma_f32 v53, v2, s5, -v3
	v_add_f32_e32 v2, v12, v16
	v_fma_f32 v56, -0.5, v2, v24
	v_add_f32_e32 v2, v13, v17
	v_fma_f32 v58, -0.5, v2, v25
	v_mov_b32_e32 v52, v56
	v_mov_b32_e32 v54, v58
	v_fmac_f32_e32 v52, 0xbf737871, v37
	v_fmac_f32_e32 v54, 0x3f737871, v40
	;; [unrolled: 1-line block ×7, first 2 shown]
	s_movk_i32 s4, 0x46
	s_mov_b32 s6, 0x3f4f1bbd
	v_sub_f32_e32 v4, v29, v47
	v_sub_f32_e32 v6, v52, v50
	;; [unrolled: 1-line block ×6, first 2 shown]
	v_cmp_gt_u32_e32 vcc, s4, v28
	s_barrier
	s_and_saveexec_b64 s[4:5], vcc
	s_cbranch_execz .LBB0_21
; %bb.20:
	v_mul_f32_e32 v59, 0x3e9e377a, v34
	v_mul_f32_e32 v34, 0x3f737871, v40
	;; [unrolled: 1-line block ×3, first 2 shown]
	v_sub_f32_e32 v34, v58, v34
	v_mul_f32_e32 v38, 0x3e9e377a, v38
	v_mul_f32_e32 v40, 0x3f737871, v44
	;; [unrolled: 1-line block ×3, first 2 shown]
	v_sub_f32_e32 v34, v34, v39
	v_mul_f32_e32 v49, 0x3f167918, v49
	v_add_f32_e32 v38, v38, v34
	v_sub_f32_e32 v34, v57, v44
	v_add_f32_e32 v9, v25, v9
	v_add_f32_e32 v8, v24, v8
	v_mul_f32_e32 v46, 0x3e9e377a, v46
	v_sub_f32_e32 v34, v34, v49
	v_add_f32_e32 v9, v9, v13
	v_add_f32_e32 v8, v8, v12
	v_mul_f32_e32 v42, 0x3f167918, v42
	v_add_f32_e32 v39, v46, v34
	v_add_f32_e32 v34, v55, v40
	;; [unrolled: 1-line block ×4, first 2 shown]
	v_mul_f32_e32 v37, 0x3f737871, v37
	v_mul_f32_e32 v41, 0x3e9e377a, v41
	v_add_f32_e32 v34, v42, v34
	v_add_f32_e32 v21, v9, v21
	;; [unrolled: 1-line block ×5, first 2 shown]
	v_mul_f32_e32 v33, 0x3f167918, v33
	v_add_f32_e32 v40, v41, v34
	v_add_f32_e32 v9, v9, v15
	;; [unrolled: 1-line block ×4, first 2 shown]
	v_mul_f32_e32 v34, 0x3f167918, v40
	v_add_f32_e32 v9, v9, v19
	v_add_f32_e32 v11, v33, v11
	v_mul_f32_e32 v25, 0x3f4f1bbd, v40
	v_add_f32_e32 v8, v8, v18
	v_fma_f32 v41, v39, s6, -v34
	v_add_f32_e32 v19, v9, v23
	v_add_f32_e32 v23, v59, v11
	v_fmac_f32_e32 v25, 0x3f167918, v39
	v_add_f32_e32 v18, v8, v22
	s_movk_i32 s6, 0x48
	v_sub_f32_e32 v9, v21, v19
	v_sub_f32_e32 v8, v20, v18
	v_add_f32_e32 v17, v38, v41
	v_add_f32_e32 v19, v21, v19
	;; [unrolled: 1-line block ×5, first 2 shown]
	v_mad_u32_u24 v1, v28, s6, v32
	v_sub_f32_e32 v34, v38, v41
	v_sub_f32_e32 v33, v23, v25
	v_add_f32_e32 v11, v54, v53
	v_add_f32_e32 v13, v35, v48
	;; [unrolled: 1-line block ×5, first 2 shown]
	ds_write2_b64 v1, v[18:19], v[16:17] offset1:1
	ds_write2_b64 v1, v[14:15], v[12:13] offset0:2 offset1:3
	ds_write2_b64 v1, v[10:11], v[8:9] offset0:4 offset1:5
	;; [unrolled: 1-line block ×4, first 2 shown]
.LBB0_21:
	s_or_b64 exec, exec, s[4:5]
	s_movk_i32 s4, 0xcd
	v_mul_lo_u16_sdwa v1, v28, s4 dst_sel:DWORD dst_unused:UNUSED_PAD src0_sel:BYTE_0 src1_sel:DWORD
	v_lshrrev_b16_e32 v29, 11, v1
	v_mul_lo_u16_e32 v1, 10, v29
	v_sub_u16_e32 v37, v28, v1
	v_mov_b32_e32 v1, 6
	v_mul_u32_u24_sdwa v1, v37, v1 dst_sel:DWORD dst_unused:UNUSED_PAD src0_sel:BYTE_0 src1_sel:DWORD
	v_lshlrev_b32_e32 v1, 3, v1
	s_waitcnt lgkmcnt(0)
	s_barrier
	global_load_dwordx4 v[8:11], v1, s[8:9]
	global_load_dwordx4 v[12:15], v1, s[8:9] offset:16
	global_load_dwordx4 v[16:19], v1, s[8:9] offset:32
	v_add_u32_e32 v33, 0x400, v32
	ds_read2_b64 v[20:23], v32 offset1:100
	ds_read2_b64 v[24:27], v0 offset0:144 offset1:244
	ds_read_b64 v[0:1], v32 offset:4800
	ds_read2_b64 v[33:36], v33 offset0:72 offset1:172
	s_mov_b32 s5, 0x3f3bfb3b
	s_mov_b32 s6, 0xbf3bfb3b
	s_mov_b32 s4, 0x3f5ff5aa
	s_waitcnt vmcnt(0) lgkmcnt(0)
	s_barrier
	v_mul_f32_e32 v38, v9, v23
	v_mul_f32_e32 v9, v9, v22
	;; [unrolled: 1-line block ×12, first 2 shown]
	v_fma_f32 v22, v8, v22, -v38
	v_fmac_f32_e32 v9, v8, v23
	v_fma_f32 v8, v10, v33, -v39
	v_fmac_f32_e32 v11, v10, v34
	v_fma_f32 v10, v12, v35, -v40
	v_fmac_f32_e32 v13, v12, v36
	v_fma_f32 v12, v14, v24, -v41
	v_fmac_f32_e32 v15, v14, v25
	v_fma_f32 v14, v16, v26, -v42
	v_fma_f32 v0, v18, v0, -v43
	v_fmac_f32_e32 v17, v16, v27
	v_fmac_f32_e32 v19, v18, v1
	v_add_f32_e32 v1, v22, v0
	v_add_f32_e32 v18, v8, v14
	;; [unrolled: 1-line block ×3, first 2 shown]
	v_sub_f32_e32 v9, v9, v19
	v_add_f32_e32 v19, v11, v17
	v_sub_f32_e32 v8, v8, v14
	v_sub_f32_e32 v11, v11, v17
	v_add_f32_e32 v14, v10, v12
	v_add_f32_e32 v17, v13, v15
	v_sub_f32_e32 v10, v12, v10
	v_sub_f32_e32 v12, v15, v13
	v_add_f32_e32 v13, v18, v1
	v_sub_f32_e32 v0, v22, v0
	v_add_f32_e32 v15, v19, v16
	v_sub_f32_e32 v22, v18, v1
	v_sub_f32_e32 v1, v1, v14
	;; [unrolled: 1-line block ×3, first 2 shown]
	v_add_f32_e32 v13, v14, v13
	v_sub_f32_e32 v23, v19, v16
	v_sub_f32_e32 v16, v16, v17
	;; [unrolled: 1-line block ×3, first 2 shown]
	v_add_f32_e32 v24, v10, v8
	v_add_f32_e32 v25, v12, v11
	v_sub_f32_e32 v26, v10, v8
	v_sub_f32_e32 v27, v12, v11
	;; [unrolled: 1-line block ×3, first 2 shown]
	v_add_f32_e32 v14, v17, v15
	v_mul_f32_e32 v1, 0x3f4a47b2, v1
	v_mul_f32_e32 v17, 0x3d64c772, v18
	v_add_f32_e32 v8, v13, v20
	v_sub_f32_e32 v10, v0, v10
	v_sub_f32_e32 v12, v9, v12
	v_sub_f32_e32 v11, v11, v9
	v_add_f32_e32 v0, v24, v0
	v_add_f32_e32 v15, v25, v9
	v_mul_f32_e32 v16, 0x3f4a47b2, v16
	v_mul_f32_e32 v24, 0x3d64c772, v19
	;; [unrolled: 1-line block ×4, first 2 shown]
	v_add_f32_e32 v9, v14, v21
	v_fma_f32 v17, v22, s5, -v17
	v_fma_f32 v21, v22, s6, -v1
	v_mov_b32_e32 v22, v8
	v_mul_f32_e32 v27, 0x3f5ff5aa, v33
	v_fma_f32 v20, v23, s5, -v24
	v_mov_b32_e32 v24, v9
	v_fmac_f32_e32 v22, 0xbf955555, v13
	v_fmac_f32_e32 v1, 0x3d64c772, v18
	v_fma_f32 v13, v23, s6, -v16
	v_fmac_f32_e32 v16, 0x3d64c772, v19
	v_fma_f32 v18, v33, s4, -v25
	v_fma_f32 v19, v11, s4, -v26
	s_mov_b32 s4, 0xbeae86e6
	v_mul_f32_e32 v34, 0x3f5ff5aa, v11
	v_fmac_f32_e32 v24, 0xbf955555, v14
	v_fma_f32 v23, v10, s4, -v27
	v_fma_f32 v27, v12, s4, -v34
	v_add_f32_e32 v33, v16, v24
	v_add_f32_e32 v16, v17, v22
	;; [unrolled: 1-line block ×5, first 2 shown]
	v_fmac_f32_e32 v19, 0x3ee1c552, v15
	v_fmac_f32_e32 v23, 0x3ee1c552, v0
	v_fmac_f32_e32 v25, 0x3eae86e6, v10
	v_fmac_f32_e32 v26, 0x3eae86e6, v12
	v_fmac_f32_e32 v18, 0x3ee1c552, v0
	v_fmac_f32_e32 v27, 0x3ee1c552, v15
	v_sub_f32_e32 v13, v21, v23
	v_sub_f32_e32 v14, v16, v19
	v_add_f32_e32 v16, v19, v16
	v_add_f32_e32 v19, v23, v21
	v_mov_b32_e32 v21, 3
	v_add_f32_e32 v1, v1, v22
	v_fmac_f32_e32 v25, 0x3ee1c552, v0
	v_fmac_f32_e32 v26, 0x3ee1c552, v15
	v_add_f32_e32 v12, v27, v20
	v_add_f32_e32 v15, v18, v17
	v_sub_f32_e32 v17, v17, v18
	v_sub_f32_e32 v18, v20, v27
	v_mul_u32_u24_e32 v20, 0x230, v29
	v_lshlrev_b32_sdwa v21, v21, v37 dst_sel:DWORD dst_unused:UNUSED_PAD src0_sel:DWORD src1_sel:BYTE_0
	v_add_f32_e32 v10, v26, v1
	v_sub_f32_e32 v11, v33, v25
	v_sub_f32_e32 v0, v1, v26
	v_add_f32_e32 v1, v25, v33
	v_add3_u32 v20, 0, v20, v21
	ds_write2_b64 v20, v[8:9], v[10:11] offset1:10
	ds_write2_b64 v20, v[12:13], v[14:15] offset0:20 offset1:30
	ds_write2_b64 v20, v[16:17], v[18:19] offset0:40 offset1:50
	ds_write_b64 v20, v[0:1] offset:480
	s_waitcnt lgkmcnt(0)
	s_barrier
	s_and_saveexec_b64 s[4:5], vcc
	s_cbranch_execz .LBB0_23
; %bb.22:
	v_add_u32_e32 v0, 0x800, v32
	v_add_u32_e32 v4, 0x1000, v32
	ds_read2_b64 v[8:11], v32 offset1:70
	ds_read2_b64 v[12:15], v32 offset0:140 offset1:210
	ds_read2_b64 v[16:19], v0 offset0:24 offset1:94
	;; [unrolled: 1-line block ×4, first 2 shown]
.LBB0_23:
	s_or_b64 exec, exec, s[4:5]
	s_waitcnt lgkmcnt(0)
	s_barrier
	s_and_saveexec_b64 s[4:5], vcc
	s_cbranch_execz .LBB0_25
; %bb.24:
	v_add_u32_e32 v20, 0xffffffba, v28
	v_cndmask_b32_e32 v20, v20, v28, vcc
	v_mul_i32_i24_e32 v20, 9, v20
	v_mov_b32_e32 v21, 0
	v_lshlrev_b64 v[20:21], 3, v[20:21]
	v_mov_b32_e32 v22, s9
	v_add_co_u32_e32 v41, vcc, s8, v20
	v_addc_co_u32_e32 v42, vcc, v22, v21, vcc
	global_load_dwordx4 v[20:23], v[41:42], off offset:480
	global_load_dwordx4 v[24:27], v[41:42], off offset:496
	;; [unrolled: 1-line block ×4, first 2 shown]
	global_load_dwordx2 v[43:44], v[41:42], off offset:544
	s_mov_b32 s7, 0x3f167918
	s_mov_b32 s9, 0xbf167918
	;; [unrolled: 1-line block ×4, first 2 shown]
	s_waitcnt vmcnt(4)
	v_mul_f32_e32 v29, v12, v23
	s_waitcnt vmcnt(3)
	v_mul_f32_e32 v41, v16, v27
	v_mul_f32_e32 v23, v13, v23
	s_waitcnt vmcnt(1)
	v_mul_f32_e32 v45, v0, v40
	v_mul_f32_e32 v46, v15, v25
	;; [unrolled: 1-line block ×3, first 2 shown]
	s_waitcnt vmcnt(0)
	v_mul_f32_e32 v48, v7, v44
	v_mul_f32_e32 v49, v3, v34
	;; [unrolled: 1-line block ×6, first 2 shown]
	v_fmac_f32_e32 v41, v17, v26
	v_fmac_f32_e32 v45, v1, v39
	v_mul_f32_e32 v42, v4, v36
	v_mul_f32_e32 v27, v17, v27
	;; [unrolled: 1-line block ×5, first 2 shown]
	v_fmac_f32_e32 v29, v13, v22
	v_fma_f32 v12, v12, v22, -v23
	v_fma_f32 v14, v14, v24, -v46
	;; [unrolled: 1-line block ×5, first 2 shown]
	v_fmac_f32_e32 v25, v15, v24
	v_fmac_f32_e32 v44, v7, v43
	;; [unrolled: 1-line block ×4, first 2 shown]
	v_add_f32_e32 v3, v41, v45
	v_mul_f32_e32 v40, v1, v40
	v_fma_f32 v13, v16, v26, -v27
	v_fma_f32 v17, v4, v35, -v36
	v_fma_f32 v10, v10, v20, -v50
	v_fmac_f32_e32 v21, v11, v20
	v_add_f32_e32 v7, v18, v23
	v_sub_f32_e32 v19, v25, v38
	v_sub_f32_e32 v20, v44, v34
	v_add_f32_e32 v27, v38, v34
	v_fma_f32 v37, -0.5, v3, v9
	v_sub_f32_e32 v3, v18, v14
	v_sub_f32_e32 v43, v23, v22
	v_fmac_f32_e32 v42, v5, v35
	v_fma_f32 v16, v0, v39, -v40
	v_sub_f32_e32 v4, v12, v17
	v_fma_f32 v39, -0.5, v7, v10
	v_add_f32_e32 v7, v19, v20
	v_fma_f32 v19, -0.5, v27, v21
	v_mov_b32_e32 v27, v37
	v_add_f32_e32 v43, v3, v43
	v_add_f32_e32 v3, v14, v22
	v_sub_f32_e32 v0, v29, v41
	v_sub_f32_e32 v1, v42, v45
	;; [unrolled: 1-line block ×3, first 2 shown]
	v_fmac_f32_e32 v27, 0x3f737871, v4
	v_fma_f32 v46, -0.5, v3, v10
	v_sub_f32_e32 v3, v38, v25
	v_sub_f32_e32 v48, v34, v44
	v_fmac_f32_e32 v37, 0xbf737871, v4
	v_add_f32_e32 v0, v0, v1
	v_fmac_f32_e32 v27, 0x3f167918, v2
	v_add_f32_e32 v48, v3, v48
	v_add_f32_e32 v3, v25, v44
	v_fmac_f32_e32 v37, 0xbf167918, v2
	v_fmac_f32_e32 v27, 0x3e9e377a, v0
	v_fma_f32 v49, -0.5, v3, v21
	v_fmac_f32_e32 v37, 0x3e9e377a, v0
	v_add_f32_e32 v0, v9, v29
	v_sub_f32_e32 v5, v14, v18
	v_sub_f32_e32 v6, v22, v23
	;; [unrolled: 1-line block ×5, first 2 shown]
	v_mov_b32_e32 v50, v49
	v_add_f32_e32 v0, v0, v41
	v_sub_f32_e32 v26, v14, v22
	v_add_f32_e32 v6, v5, v6
	v_add_f32_e32 v5, v33, v35
	v_mov_b32_e32 v35, v19
	v_fmac_f32_e32 v50, 0xbf737871, v24
	v_fmac_f32_e32 v49, 0x3f737871, v24
	v_add_f32_e32 v0, v0, v45
	v_add_f32_e32 v36, v29, v42
	v_fmac_f32_e32 v35, 0x3f737871, v26
	v_fmac_f32_e32 v50, 0x3f167918, v26
	;; [unrolled: 1-line block ×4, first 2 shown]
	v_add_f32_e32 v26, v0, v42
	v_add_f32_e32 v0, v21, v25
	v_sub_f32_e32 v11, v25, v44
	v_fma_f32 v20, -0.5, v36, v9
	v_mov_b32_e32 v33, v39
	v_add_f32_e32 v0, v0, v38
	v_sub_f32_e32 v15, v38, v34
	v_mov_b32_e32 v36, v20
	v_fmac_f32_e32 v33, 0xbf737871, v11
	v_fmac_f32_e32 v39, 0x3f737871, v11
	v_add_f32_e32 v0, v0, v34
	v_fmac_f32_e32 v33, 0xbf167918, v15
	v_fmac_f32_e32 v36, 0xbf737871, v2
	;; [unrolled: 1-line block ×4, first 2 shown]
	v_add_f32_e32 v21, v0, v44
	v_sub_f32_e32 v0, v12, v13
	v_sub_f32_e32 v2, v17, v16
	v_fmac_f32_e32 v33, 0x3e9e377a, v6
	v_fmac_f32_e32 v36, 0x3f167918, v4
	;; [unrolled: 1-line block ×4, first 2 shown]
	v_add_f32_e32 v6, v0, v2
	v_sub_f32_e32 v2, v13, v12
	v_sub_f32_e32 v4, v16, v17
	v_add_f32_e32 v0, v13, v16
	v_add_f32_e32 v4, v2, v4
	;; [unrolled: 1-line block ×3, first 2 shown]
	v_fmac_f32_e32 v35, 0x3f167918, v24
	v_mov_b32_e32 v47, v46
	v_fmac_f32_e32 v19, 0xbf167918, v24
	v_fma_f32 v25, -0.5, v0, v8
	v_fma_f32 v34, -0.5, v2, v8
	v_add_f32_e32 v8, v8, v12
	v_fmac_f32_e32 v35, 0x3e9e377a, v7
	v_fmac_f32_e32 v47, 0x3f737871, v15
	;; [unrolled: 1-line block ×4, first 2 shown]
	v_add_f32_e32 v8, v8, v13
	v_mul_f32_e32 v1, 0x3f4f1bbd, v35
	v_fmac_f32_e32 v47, 0xbf167918, v11
	v_fmac_f32_e32 v46, 0x3f167918, v11
	v_sub_f32_e32 v11, v29, v42
	v_mul_f32_e32 v0, 0x3f4f1bbd, v33
	v_mul_f32_e32 v42, 0x3f167918, v19
	v_add_f32_e32 v8, v8, v16
	v_fma_f32 v40, v33, s9, -v1
	v_mul_f32_e32 v24, 0xbf167918, v39
	v_sub_f32_e32 v15, v41, v45
	v_fma_f32 v33, v35, s7, -v0
	v_mov_b32_e32 v35, v34
	v_fmac_f32_e32 v42, 0x3f4f1bbd, v39
	v_add_f32_e32 v39, v8, v17
	v_add_f32_e32 v8, v10, v14
	v_fmac_f32_e32 v47, 0x3e9e377a, v43
	v_mov_b32_e32 v29, v25
	v_fmac_f32_e32 v35, 0x3f737871, v15
	v_fmac_f32_e32 v25, 0x3f737871, v11
	v_add_f32_e32 v8, v8, v18
	v_fmac_f32_e32 v50, 0x3e9e377a, v48
	v_fmac_f32_e32 v49, 0x3e9e377a, v48
	v_fmac_f32_e32 v46, 0x3e9e377a, v43
	v_fmac_f32_e32 v29, 0xbf737871, v11
	v_fmac_f32_e32 v35, 0xbf167918, v11
	v_mul_f32_e32 v2, 0x3e9e377a, v47
	v_fmac_f32_e32 v34, 0xbf737871, v15
	v_fmac_f32_e32 v25, 0x3f167918, v15
	v_add_f32_e32 v8, v8, v23
	v_mul_f32_e32 v3, 0x3e9e377a, v50
	v_mul_f32_e32 v43, 0xbf737871, v46
	v_fmac_f32_e32 v24, 0x3f4f1bbd, v19
	v_fmac_f32_e32 v29, 0xbf167918, v15
	;; [unrolled: 1-line block ×3, first 2 shown]
	v_fma_f32 v38, v50, s6, -v2
	v_fmac_f32_e32 v34, 0x3f167918, v11
	v_mul_f32_e32 v41, 0x3f737871, v49
	v_fmac_f32_e32 v25, 0x3e9e377a, v6
	v_add_f32_e32 v18, v8, v22
	v_fmac_f32_e32 v36, 0x3e9e377a, v5
	v_fma_f32 v51, v47, s8, -v3
	v_fmac_f32_e32 v20, 0x3e9e377a, v5
	v_fmac_f32_e32 v43, 0x3e9e377a, v49
	;; [unrolled: 1-line block ×5, first 2 shown]
	v_sub_f32_e32 v8, v39, v18
	v_add_f32_e32 v17, v37, v24
	v_add_f32_e32 v19, v26, v21
	;; [unrolled: 1-line block ×5, first 2 shown]
	v_sub_f32_e32 v9, v26, v21
	v_sub_f32_e32 v4, v34, v41
	v_add_f32_e32 v11, v27, v40
	v_add_f32_e32 v13, v36, v51
	;; [unrolled: 1-line block ×5, first 2 shown]
	ds_write2_b64 v32, v[18:19], v[16:17] offset1:70
	ds_write2_b64 v32, v[14:15], v[12:13] offset0:140 offset1:210
	v_add_u32_e32 v12, 0x800, v32
	v_sub_f32_e32 v1, v27, v40
	v_sub_f32_e32 v3, v36, v51
	;; [unrolled: 1-line block ×7, first 2 shown]
	ds_write2_b64 v12, v[10:11], v[8:9] offset0:24 offset1:94
	ds_write2_b64 v12, v[6:7], v[4:5] offset0:164 offset1:234
	v_add_u32_e32 v4, 0x1000, v32
	ds_write2_b64 v4, v[2:3], v[0:1] offset0:48 offset1:118
.LBB0_25:
	s_or_b64 exec, exec, s[4:5]
	s_waitcnt lgkmcnt(0)
	s_barrier
	s_and_saveexec_b64 s[4:5], s[0:1]
	s_cbranch_execz .LBB0_27
; %bb.26:
	v_lshl_add_u32 v6, v28, 3, 0
	v_mov_b32_e32 v29, 0
	ds_read2_b64 v[0:3], v6 offset1:100
	v_mov_b32_e32 v4, s3
	v_add_co_u32_e32 v7, vcc, s2, v30
	v_addc_co_u32_e32 v8, vcc, v4, v31, vcc
	v_lshlrev_b64 v[4:5], 3, v[28:29]
	v_add_co_u32_e32 v4, vcc, v7, v4
	v_addc_co_u32_e32 v5, vcc, v8, v5, vcc
	s_waitcnt lgkmcnt(0)
	global_store_dwordx2 v[4:5], v[0:1], off
	v_add_u32_e32 v0, 0x64, v28
	v_mov_b32_e32 v1, v29
	v_lshlrev_b64 v[0:1], 3, v[0:1]
	v_add_u32_e32 v4, 0xc8, v28
	v_add_co_u32_e32 v0, vcc, v7, v0
	v_addc_co_u32_e32 v1, vcc, v8, v1, vcc
	global_store_dwordx2 v[0:1], v[2:3], off
	v_add_u32_e32 v0, 0x400, v6
	v_mov_b32_e32 v5, v29
	ds_read2_b64 v[0:3], v0 offset0:72 offset1:172
	v_lshlrev_b64 v[4:5], 3, v[4:5]
	v_add_co_u32_e32 v4, vcc, v7, v4
	v_addc_co_u32_e32 v5, vcc, v8, v5, vcc
	s_waitcnt lgkmcnt(0)
	global_store_dwordx2 v[4:5], v[0:1], off
	v_add_u32_e32 v0, 0x12c, v28
	v_mov_b32_e32 v1, v29
	v_lshlrev_b64 v[0:1], 3, v[0:1]
	v_add_u32_e32 v4, 0x190, v28
	v_add_co_u32_e32 v0, vcc, v7, v0
	v_addc_co_u32_e32 v1, vcc, v8, v1, vcc
	global_store_dwordx2 v[0:1], v[2:3], off
	v_add_u32_e32 v0, 0x800, v6
	v_mov_b32_e32 v5, v29
	ds_read2_b64 v[0:3], v0 offset0:144 offset1:244
	v_lshlrev_b64 v[4:5], 3, v[4:5]
	v_add_co_u32_e32 v4, vcc, v7, v4
	v_addc_co_u32_e32 v5, vcc, v8, v5, vcc
	s_waitcnt lgkmcnt(0)
	global_store_dwordx2 v[4:5], v[0:1], off
	v_add_u32_e32 v0, 0x1f4, v28
	v_mov_b32_e32 v1, v29
	v_lshlrev_b64 v[0:1], 3, v[0:1]
	v_add_u32_e32 v28, 0x258, v28
	v_add_co_u32_e32 v0, vcc, v7, v0
	v_addc_co_u32_e32 v1, vcc, v8, v1, vcc
	global_store_dwordx2 v[0:1], v[2:3], off
	ds_read_b64 v[0:1], v6 offset:4800
	v_lshlrev_b64 v[2:3], 3, v[28:29]
	v_add_co_u32_e32 v2, vcc, v7, v2
	v_addc_co_u32_e32 v3, vcc, v8, v3, vcc
	s_waitcnt lgkmcnt(0)
	global_store_dwordx2 v[2:3], v[0:1], off
.LBB0_27:
	s_endpgm
	.section	.rodata,"a",@progbits
	.p2align	6, 0x0
	.amdhsa_kernel fft_rtc_fwd_len700_factors_10_7_10_wgs_100_tpt_100_sp_ip_CI_unitstride_sbrr_C2R_dirReg
		.amdhsa_group_segment_fixed_size 0
		.amdhsa_private_segment_fixed_size 0
		.amdhsa_kernarg_size 88
		.amdhsa_user_sgpr_count 6
		.amdhsa_user_sgpr_private_segment_buffer 1
		.amdhsa_user_sgpr_dispatch_ptr 0
		.amdhsa_user_sgpr_queue_ptr 0
		.amdhsa_user_sgpr_kernarg_segment_ptr 1
		.amdhsa_user_sgpr_dispatch_id 0
		.amdhsa_user_sgpr_flat_scratch_init 0
		.amdhsa_user_sgpr_private_segment_size 0
		.amdhsa_uses_dynamic_stack 0
		.amdhsa_system_sgpr_private_segment_wavefront_offset 0
		.amdhsa_system_sgpr_workgroup_id_x 1
		.amdhsa_system_sgpr_workgroup_id_y 0
		.amdhsa_system_sgpr_workgroup_id_z 0
		.amdhsa_system_sgpr_workgroup_info 0
		.amdhsa_system_vgpr_workitem_id 0
		.amdhsa_next_free_vgpr 60
		.amdhsa_next_free_sgpr 22
		.amdhsa_reserve_vcc 1
		.amdhsa_reserve_flat_scratch 0
		.amdhsa_float_round_mode_32 0
		.amdhsa_float_round_mode_16_64 0
		.amdhsa_float_denorm_mode_32 3
		.amdhsa_float_denorm_mode_16_64 3
		.amdhsa_dx10_clamp 1
		.amdhsa_ieee_mode 1
		.amdhsa_fp16_overflow 0
		.amdhsa_exception_fp_ieee_invalid_op 0
		.amdhsa_exception_fp_denorm_src 0
		.amdhsa_exception_fp_ieee_div_zero 0
		.amdhsa_exception_fp_ieee_overflow 0
		.amdhsa_exception_fp_ieee_underflow 0
		.amdhsa_exception_fp_ieee_inexact 0
		.amdhsa_exception_int_div_zero 0
	.end_amdhsa_kernel
	.text
.Lfunc_end0:
	.size	fft_rtc_fwd_len700_factors_10_7_10_wgs_100_tpt_100_sp_ip_CI_unitstride_sbrr_C2R_dirReg, .Lfunc_end0-fft_rtc_fwd_len700_factors_10_7_10_wgs_100_tpt_100_sp_ip_CI_unitstride_sbrr_C2R_dirReg
                                        ; -- End function
	.section	.AMDGPU.csdata,"",@progbits
; Kernel info:
; codeLenInByte = 5672
; NumSgprs: 26
; NumVgprs: 60
; ScratchSize: 0
; MemoryBound: 0
; FloatMode: 240
; IeeeMode: 1
; LDSByteSize: 0 bytes/workgroup (compile time only)
; SGPRBlocks: 3
; VGPRBlocks: 14
; NumSGPRsForWavesPerEU: 26
; NumVGPRsForWavesPerEU: 60
; Occupancy: 4
; WaveLimiterHint : 1
; COMPUTE_PGM_RSRC2:SCRATCH_EN: 0
; COMPUTE_PGM_RSRC2:USER_SGPR: 6
; COMPUTE_PGM_RSRC2:TRAP_HANDLER: 0
; COMPUTE_PGM_RSRC2:TGID_X_EN: 1
; COMPUTE_PGM_RSRC2:TGID_Y_EN: 0
; COMPUTE_PGM_RSRC2:TGID_Z_EN: 0
; COMPUTE_PGM_RSRC2:TIDIG_COMP_CNT: 0
	.type	__hip_cuid_acde7309ca63b8fa,@object ; @__hip_cuid_acde7309ca63b8fa
	.section	.bss,"aw",@nobits
	.globl	__hip_cuid_acde7309ca63b8fa
__hip_cuid_acde7309ca63b8fa:
	.byte	0                               ; 0x0
	.size	__hip_cuid_acde7309ca63b8fa, 1

	.ident	"AMD clang version 19.0.0git (https://github.com/RadeonOpenCompute/llvm-project roc-6.4.0 25133 c7fe45cf4b819c5991fe208aaa96edf142730f1d)"
	.section	".note.GNU-stack","",@progbits
	.addrsig
	.addrsig_sym __hip_cuid_acde7309ca63b8fa
	.amdgpu_metadata
---
amdhsa.kernels:
  - .args:
      - .actual_access:  read_only
        .address_space:  global
        .offset:         0
        .size:           8
        .value_kind:     global_buffer
      - .offset:         8
        .size:           8
        .value_kind:     by_value
      - .actual_access:  read_only
        .address_space:  global
        .offset:         16
        .size:           8
        .value_kind:     global_buffer
      - .actual_access:  read_only
        .address_space:  global
        .offset:         24
        .size:           8
        .value_kind:     global_buffer
      - .offset:         32
        .size:           8
        .value_kind:     by_value
      - .actual_access:  read_only
        .address_space:  global
        .offset:         40
        .size:           8
        .value_kind:     global_buffer
      - .actual_access:  read_only
        .address_space:  global
        .offset:         48
        .size:           8
        .value_kind:     global_buffer
      - .offset:         56
        .size:           4
        .value_kind:     by_value
      - .actual_access:  read_only
        .address_space:  global
        .offset:         64
        .size:           8
        .value_kind:     global_buffer
      - .actual_access:  read_only
        .address_space:  global
        .offset:         72
        .size:           8
        .value_kind:     global_buffer
      - .address_space:  global
        .offset:         80
        .size:           8
        .value_kind:     global_buffer
    .group_segment_fixed_size: 0
    .kernarg_segment_align: 8
    .kernarg_segment_size: 88
    .language:       OpenCL C
    .language_version:
      - 2
      - 0
    .max_flat_workgroup_size: 100
    .name:           fft_rtc_fwd_len700_factors_10_7_10_wgs_100_tpt_100_sp_ip_CI_unitstride_sbrr_C2R_dirReg
    .private_segment_fixed_size: 0
    .sgpr_count:     26
    .sgpr_spill_count: 0
    .symbol:         fft_rtc_fwd_len700_factors_10_7_10_wgs_100_tpt_100_sp_ip_CI_unitstride_sbrr_C2R_dirReg.kd
    .uniform_work_group_size: 1
    .uses_dynamic_stack: false
    .vgpr_count:     60
    .vgpr_spill_count: 0
    .wavefront_size: 64
amdhsa.target:   amdgcn-amd-amdhsa--gfx906
amdhsa.version:
  - 1
  - 2
...

	.end_amdgpu_metadata
